;; amdgpu-corpus repo=ROCm/rocFFT kind=compiled arch=gfx906 opt=O3
	.text
	.amdgcn_target "amdgcn-amd-amdhsa--gfx906"
	.amdhsa_code_object_version 6
	.protected	fft_rtc_back_len1584_factors_4_2_2_11_3_3_wgs_176_tpt_176_halfLds_dp_ip_CI_sbrr_dirReg ; -- Begin function fft_rtc_back_len1584_factors_4_2_2_11_3_3_wgs_176_tpt_176_halfLds_dp_ip_CI_sbrr_dirReg
	.globl	fft_rtc_back_len1584_factors_4_2_2_11_3_3_wgs_176_tpt_176_halfLds_dp_ip_CI_sbrr_dirReg
	.p2align	8
	.type	fft_rtc_back_len1584_factors_4_2_2_11_3_3_wgs_176_tpt_176_halfLds_dp_ip_CI_sbrr_dirReg,@function
fft_rtc_back_len1584_factors_4_2_2_11_3_3_wgs_176_tpt_176_halfLds_dp_ip_CI_sbrr_dirReg: ; @fft_rtc_back_len1584_factors_4_2_2_11_3_3_wgs_176_tpt_176_halfLds_dp_ip_CI_sbrr_dirReg
; %bb.0:
	s_load_dwordx2 s[2:3], s[4:5], 0x18
	s_load_dwordx4 s[8:11], s[4:5], 0x0
	s_load_dwordx2 s[14:15], s[4:5], 0x50
	v_mul_u32_u24_e32 v1, 0x175, v0
	v_add_u32_sdwa v5, s6, v1 dst_sel:DWORD dst_unused:UNUSED_PAD src0_sel:DWORD src1_sel:WORD_1
	s_waitcnt lgkmcnt(0)
	s_load_dwordx2 s[12:13], s[2:3], 0x0
	v_cmp_lt_u64_e64 s[0:1], s[10:11], 2
	v_mov_b32_e32 v3, 0
	v_mov_b32_e32 v1, 0
	;; [unrolled: 1-line block ×3, first 2 shown]
	s_and_b64 vcc, exec, s[0:1]
	v_mov_b32_e32 v2, 0
	s_cbranch_vccnz .LBB0_8
; %bb.1:
	s_load_dwordx2 s[0:1], s[4:5], 0x10
	s_add_u32 s6, s2, 8
	s_addc_u32 s7, s3, 0
	v_mov_b32_e32 v1, 0
	v_mov_b32_e32 v2, 0
	s_waitcnt lgkmcnt(0)
	s_add_u32 s16, s0, 8
	s_addc_u32 s17, s1, 0
	s_mov_b64 s[18:19], 1
.LBB0_2:                                ; =>This Inner Loop Header: Depth=1
	s_load_dwordx2 s[20:21], s[16:17], 0x0
                                        ; implicit-def: $vgpr7_vgpr8
	s_waitcnt lgkmcnt(0)
	v_or_b32_e32 v4, s21, v6
	v_cmp_ne_u64_e32 vcc, 0, v[3:4]
	s_and_saveexec_b64 s[0:1], vcc
	s_xor_b64 s[22:23], exec, s[0:1]
	s_cbranch_execz .LBB0_4
; %bb.3:                                ;   in Loop: Header=BB0_2 Depth=1
	v_cvt_f32_u32_e32 v4, s20
	v_cvt_f32_u32_e32 v7, s21
	s_sub_u32 s0, 0, s20
	s_subb_u32 s1, 0, s21
	v_mac_f32_e32 v4, 0x4f800000, v7
	v_rcp_f32_e32 v4, v4
	v_mul_f32_e32 v4, 0x5f7ffffc, v4
	v_mul_f32_e32 v7, 0x2f800000, v4
	v_trunc_f32_e32 v7, v7
	v_mac_f32_e32 v4, 0xcf800000, v7
	v_cvt_u32_f32_e32 v7, v7
	v_cvt_u32_f32_e32 v4, v4
	v_mul_lo_u32 v8, s0, v7
	v_mul_hi_u32 v9, s0, v4
	v_mul_lo_u32 v11, s1, v4
	v_mul_lo_u32 v10, s0, v4
	v_add_u32_e32 v8, v9, v8
	v_add_u32_e32 v8, v8, v11
	v_mul_hi_u32 v9, v4, v10
	v_mul_lo_u32 v11, v4, v8
	v_mul_hi_u32 v13, v4, v8
	v_mul_hi_u32 v12, v7, v10
	v_mul_lo_u32 v10, v7, v10
	v_mul_hi_u32 v14, v7, v8
	v_add_co_u32_e32 v9, vcc, v9, v11
	v_addc_co_u32_e32 v11, vcc, 0, v13, vcc
	v_mul_lo_u32 v8, v7, v8
	v_add_co_u32_e32 v9, vcc, v9, v10
	v_addc_co_u32_e32 v9, vcc, v11, v12, vcc
	v_addc_co_u32_e32 v10, vcc, 0, v14, vcc
	v_add_co_u32_e32 v8, vcc, v9, v8
	v_addc_co_u32_e32 v9, vcc, 0, v10, vcc
	v_add_co_u32_e32 v4, vcc, v4, v8
	v_addc_co_u32_e32 v7, vcc, v7, v9, vcc
	v_mul_lo_u32 v8, s0, v7
	v_mul_hi_u32 v9, s0, v4
	v_mul_lo_u32 v10, s1, v4
	v_mul_lo_u32 v11, s0, v4
	v_add_u32_e32 v8, v9, v8
	v_add_u32_e32 v8, v8, v10
	v_mul_lo_u32 v12, v4, v8
	v_mul_hi_u32 v13, v4, v11
	v_mul_hi_u32 v14, v4, v8
	;; [unrolled: 1-line block ×3, first 2 shown]
	v_mul_lo_u32 v11, v7, v11
	v_mul_hi_u32 v9, v7, v8
	v_add_co_u32_e32 v12, vcc, v13, v12
	v_addc_co_u32_e32 v13, vcc, 0, v14, vcc
	v_mul_lo_u32 v8, v7, v8
	v_add_co_u32_e32 v11, vcc, v12, v11
	v_addc_co_u32_e32 v10, vcc, v13, v10, vcc
	v_addc_co_u32_e32 v9, vcc, 0, v9, vcc
	v_add_co_u32_e32 v8, vcc, v10, v8
	v_addc_co_u32_e32 v9, vcc, 0, v9, vcc
	v_add_co_u32_e32 v4, vcc, v4, v8
	v_addc_co_u32_e32 v9, vcc, v7, v9, vcc
	v_mad_u64_u32 v[7:8], s[0:1], v5, v9, 0
	v_mul_hi_u32 v10, v5, v4
	v_add_co_u32_e32 v11, vcc, v10, v7
	v_addc_co_u32_e32 v12, vcc, 0, v8, vcc
	v_mad_u64_u32 v[7:8], s[0:1], v6, v4, 0
	v_mad_u64_u32 v[9:10], s[0:1], v6, v9, 0
	v_add_co_u32_e32 v4, vcc, v11, v7
	v_addc_co_u32_e32 v4, vcc, v12, v8, vcc
	v_addc_co_u32_e32 v7, vcc, 0, v10, vcc
	v_add_co_u32_e32 v4, vcc, v4, v9
	v_addc_co_u32_e32 v9, vcc, 0, v7, vcc
	v_mul_lo_u32 v10, s21, v4
	v_mul_lo_u32 v11, s20, v9
	v_mad_u64_u32 v[7:8], s[0:1], s20, v4, 0
	v_add3_u32 v8, v8, v11, v10
	v_sub_u32_e32 v10, v6, v8
	v_mov_b32_e32 v11, s21
	v_sub_co_u32_e32 v7, vcc, v5, v7
	v_subb_co_u32_e64 v10, s[0:1], v10, v11, vcc
	v_subrev_co_u32_e64 v11, s[0:1], s20, v7
	v_subbrev_co_u32_e64 v10, s[0:1], 0, v10, s[0:1]
	v_cmp_le_u32_e64 s[0:1], s21, v10
	v_cndmask_b32_e64 v12, 0, -1, s[0:1]
	v_cmp_le_u32_e64 s[0:1], s20, v11
	v_cndmask_b32_e64 v11, 0, -1, s[0:1]
	v_cmp_eq_u32_e64 s[0:1], s21, v10
	v_cndmask_b32_e64 v10, v12, v11, s[0:1]
	v_add_co_u32_e64 v11, s[0:1], 2, v4
	v_addc_co_u32_e64 v12, s[0:1], 0, v9, s[0:1]
	v_add_co_u32_e64 v13, s[0:1], 1, v4
	v_addc_co_u32_e64 v14, s[0:1], 0, v9, s[0:1]
	v_subb_co_u32_e32 v8, vcc, v6, v8, vcc
	v_cmp_ne_u32_e64 s[0:1], 0, v10
	v_cmp_le_u32_e32 vcc, s21, v8
	v_cndmask_b32_e64 v10, v14, v12, s[0:1]
	v_cndmask_b32_e64 v12, 0, -1, vcc
	v_cmp_le_u32_e32 vcc, s20, v7
	v_cndmask_b32_e64 v7, 0, -1, vcc
	v_cmp_eq_u32_e32 vcc, s21, v8
	v_cndmask_b32_e32 v7, v12, v7, vcc
	v_cmp_ne_u32_e32 vcc, 0, v7
	v_cndmask_b32_e64 v7, v13, v11, s[0:1]
	v_cndmask_b32_e32 v8, v9, v10, vcc
	v_cndmask_b32_e32 v7, v4, v7, vcc
.LBB0_4:                                ;   in Loop: Header=BB0_2 Depth=1
	s_andn2_saveexec_b64 s[0:1], s[22:23]
	s_cbranch_execz .LBB0_6
; %bb.5:                                ;   in Loop: Header=BB0_2 Depth=1
	v_cvt_f32_u32_e32 v4, s20
	s_sub_i32 s22, 0, s20
	v_rcp_iflag_f32_e32 v4, v4
	v_mul_f32_e32 v4, 0x4f7ffffe, v4
	v_cvt_u32_f32_e32 v4, v4
	v_mul_lo_u32 v7, s22, v4
	v_mul_hi_u32 v7, v4, v7
	v_add_u32_e32 v4, v4, v7
	v_mul_hi_u32 v4, v5, v4
	v_mul_lo_u32 v7, v4, s20
	v_add_u32_e32 v8, 1, v4
	v_sub_u32_e32 v7, v5, v7
	v_subrev_u32_e32 v9, s20, v7
	v_cmp_le_u32_e32 vcc, s20, v7
	v_cndmask_b32_e32 v7, v7, v9, vcc
	v_cndmask_b32_e32 v4, v4, v8, vcc
	v_add_u32_e32 v8, 1, v4
	v_cmp_le_u32_e32 vcc, s20, v7
	v_cndmask_b32_e32 v7, v4, v8, vcc
	v_mov_b32_e32 v8, v3
.LBB0_6:                                ;   in Loop: Header=BB0_2 Depth=1
	s_or_b64 exec, exec, s[0:1]
	v_mul_lo_u32 v4, v8, s20
	v_mul_lo_u32 v11, v7, s21
	v_mad_u64_u32 v[9:10], s[0:1], v7, s20, 0
	s_load_dwordx2 s[0:1], s[6:7], 0x0
	s_add_u32 s18, s18, 1
	v_add3_u32 v4, v10, v11, v4
	v_sub_co_u32_e32 v5, vcc, v5, v9
	v_subb_co_u32_e32 v4, vcc, v6, v4, vcc
	s_waitcnt lgkmcnt(0)
	v_mul_lo_u32 v4, s0, v4
	v_mul_lo_u32 v6, s1, v5
	v_mad_u64_u32 v[1:2], s[0:1], s0, v5, v[1:2]
	s_addc_u32 s19, s19, 0
	s_add_u32 s6, s6, 8
	v_add3_u32 v2, v6, v2, v4
	v_mov_b32_e32 v4, s10
	v_mov_b32_e32 v5, s11
	s_addc_u32 s7, s7, 0
	v_cmp_ge_u64_e32 vcc, s[18:19], v[4:5]
	s_add_u32 s16, s16, 8
	s_addc_u32 s17, s17, 0
	s_cbranch_vccnz .LBB0_9
; %bb.7:                                ;   in Loop: Header=BB0_2 Depth=1
	v_mov_b32_e32 v5, v7
	v_mov_b32_e32 v6, v8
	s_branch .LBB0_2
.LBB0_8:
	v_mov_b32_e32 v8, v6
	v_mov_b32_e32 v7, v5
.LBB0_9:
	s_lshl_b64 s[0:1], s[10:11], 3
	s_add_u32 s0, s2, s0
	s_addc_u32 s1, s3, s1
	s_load_dwordx2 s[2:3], s[0:1], 0x0
	s_load_dwordx2 s[6:7], s[4:5], 0x20
                                        ; implicit-def: $vgpr59
	s_waitcnt lgkmcnt(0)
	v_mad_u64_u32 v[1:2], s[0:1], s2, v7, v[1:2]
	s_mov_b32 s0, 0x1745d18
	v_mul_lo_u32 v3, s2, v8
	v_mul_lo_u32 v4, s3, v7
	v_mul_hi_u32 v5, v0, s0
	v_cmp_gt_u64_e32 vcc, s[6:7], v[7:8]
	v_cmp_le_u64_e64 s[0:1], s[6:7], v[7:8]
	v_add3_u32 v2, v4, v2, v3
	v_mul_u32_u24_e32 v3, 0xb0, v5
	v_sub_u32_e32 v76, v0, v3
	s_and_saveexec_b64 s[2:3], s[0:1]
	s_xor_b64 s[0:1], exec, s[2:3]
; %bb.10:
	v_add_u32_e32 v59, 0xb0, v76
; %bb.11:
	s_or_saveexec_b64 s[2:3], s[0:1]
	v_lshlrev_b64 v[56:57], 4, v[1:2]
                                        ; implicit-def: $vgpr2_vgpr3
                                        ; implicit-def: $vgpr24_vgpr25
                                        ; implicit-def: $vgpr8_vgpr9
                                        ; implicit-def: $vgpr20_vgpr21
                                        ; implicit-def: $vgpr34_vgpr35
                                        ; implicit-def: $vgpr38_vgpr39
                                        ; implicit-def: $vgpr50_vgpr51
                                        ; implicit-def: $vgpr28_vgpr29
                                        ; implicit-def: $vgpr42_vgpr43
                                        ; implicit-def: $vgpr16_vgpr17
                                        ; implicit-def: $vgpr46_vgpr47
                                        ; implicit-def: $vgpr12_vgpr13
	s_xor_b64 exec, exec, s[2:3]
	s_cbranch_execz .LBB0_15
; %bb.12:
	v_mad_u64_u32 v[0:1], s[0:1], s12, v76, 0
	v_add_u32_e32 v6, 0x18c, v76
	v_mov_b32_e32 v5, s15
	v_mad_u64_u32 v[1:2], s[0:1], s13, v76, v[1:2]
	v_mad_u64_u32 v[2:3], s[0:1], s12, v6, 0
	v_add_co_u32_e64 v4, s[0:1], s14, v56
	v_addc_co_u32_e64 v5, s[0:1], v5, v57, s[0:1]
	v_mad_u64_u32 v[6:7], s[0:1], s13, v6, v[3:4]
	v_add_u32_e32 v9, 0x318, v76
	v_mad_u64_u32 v[7:8], s[0:1], s12, v9, 0
	v_lshlrev_b64 v[0:1], 4, v[0:1]
	v_mov_b32_e32 v3, v6
	v_add_co_u32_e64 v26, s[0:1], v4, v0
	v_addc_co_u32_e64 v27, s[0:1], v5, v1, s[0:1]
	v_lshlrev_b64 v[0:1], 4, v[2:3]
	v_mov_b32_e32 v2, v8
	v_mad_u64_u32 v[2:3], s[0:1], s13, v9, v[2:3]
	v_add_u32_e32 v3, 0x4a4, v76
	v_mad_u64_u32 v[9:10], s[0:1], s12, v3, 0
	v_add_co_u32_e64 v28, s[0:1], v4, v0
	v_mov_b32_e32 v8, v2
	v_mov_b32_e32 v2, v10
	v_add_u32_e32 v59, 0xb0, v76
	v_addc_co_u32_e64 v29, s[0:1], v5, v1, s[0:1]
	v_lshlrev_b64 v[0:1], 4, v[7:8]
	v_mad_u64_u32 v[2:3], s[0:1], s13, v3, v[2:3]
	v_mad_u64_u32 v[6:7], s[0:1], s12, v59, 0
	v_add_co_u32_e64 v30, s[0:1], v4, v0
	v_mov_b32_e32 v10, v2
	v_mov_b32_e32 v2, v7
	v_addc_co_u32_e64 v31, s[0:1], v5, v1, s[0:1]
	v_mad_u64_u32 v[2:3], s[0:1], s13, v59, v[2:3]
	v_add_u32_e32 v3, 0x23c, v76
	v_lshlrev_b64 v[0:1], 4, v[9:10]
	v_mad_u64_u32 v[8:9], s[0:1], s12, v3, 0
	v_add_co_u32_e64 v32, s[0:1], v4, v0
	v_mov_b32_e32 v7, v2
	v_mov_b32_e32 v2, v9
	v_addc_co_u32_e64 v33, s[0:1], v5, v1, s[0:1]
	v_mad_u64_u32 v[2:3], s[0:1], s13, v3, v[2:3]
	v_add_u32_e32 v3, 0x3c8, v76
	v_lshlrev_b64 v[0:1], 4, v[6:7]
	;; [unrolled: 8-line block ×3, first 2 shown]
	v_mad_u64_u32 v[8:9], s[0:1], s12, v3, 0
	v_add_co_u32_e64 v36, s[0:1], v4, v0
	v_mov_b32_e32 v7, v2
	v_mov_b32_e32 v2, v9
	v_addc_co_u32_e64 v37, s[0:1], v5, v1, s[0:1]
	v_mad_u64_u32 v[2:3], s[0:1], s13, v3, v[2:3]
	v_lshlrev_b64 v[0:1], 4, v[6:7]
	v_add_co_u32_e64 v38, s[0:1], v4, v0
	v_mov_b32_e32 v9, v2
	v_addc_co_u32_e64 v39, s[0:1], v5, v1, s[0:1]
	v_lshlrev_b64 v[0:1], 4, v[8:9]
	v_add_co_u32_e64 v48, s[0:1], v4, v0
	v_addc_co_u32_e64 v49, s[0:1], v5, v1, s[0:1]
	global_load_dwordx4 v[10:13], v[26:27], off
	global_load_dwordx4 v[0:3], v[28:29], off
	;; [unrolled: 1-line block ×8, first 2 shown]
	v_cmp_gt_u32_e64 s[0:1], 44, v76
                                        ; implicit-def: $vgpr26_vgpr27
                                        ; implicit-def: $vgpr48_vgpr49
                                        ; implicit-def: $vgpr36_vgpr37
                                        ; implicit-def: $vgpr32_vgpr33
	s_and_saveexec_b64 s[4:5], s[0:1]
	s_cbranch_execz .LBB0_14
; %bb.13:
	v_add_u32_e32 v30, 0x160, v76
	v_add_u32_e32 v32, 0x2ec, v76
	v_mad_u64_u32 v[26:27], s[0:1], s12, v30, 0
	v_mad_u64_u32 v[28:29], s[0:1], s12, v32, 0
	v_add_u32_e32 v51, 0x604, v76
	v_mad_u64_u32 v[30:31], s[0:1], s13, v30, v[27:28]
	v_mov_b32_e32 v27, v30
	v_mad_u64_u32 v[29:30], s[0:1], s13, v32, v[29:30]
	v_lshlrev_b64 v[26:27], 4, v[26:27]
	v_add_co_u32_e64 v30, s[0:1], v4, v26
	v_addc_co_u32_e64 v31, s[0:1], v5, v27, s[0:1]
	v_lshlrev_b64 v[26:27], 4, v[28:29]
	v_add_u32_e32 v28, 0x478, v76
	v_mad_u64_u32 v[36:37], s[0:1], s12, v28, 0
	v_add_co_u32_e64 v38, s[0:1], v4, v26
	v_mov_b32_e32 v26, v37
	v_addc_co_u32_e64 v39, s[0:1], v5, v27, s[0:1]
	v_mad_u64_u32 v[48:49], s[0:1], s13, v28, v[26:27]
	v_mad_u64_u32 v[49:50], s[0:1], s12, v51, 0
	v_mov_b32_e32 v37, v48
	global_load_dwordx4 v[26:29], v[30:31], off
	global_load_dwordx4 v[32:35], v[38:39], off
	v_lshlrev_b64 v[30:31], 4, v[36:37]
	v_mov_b32_e32 v36, v50
	v_mad_u64_u32 v[36:37], s[0:1], s13, v51, v[36:37]
	v_add_co_u32_e64 v30, s[0:1], v4, v30
	v_mov_b32_e32 v50, v36
	v_lshlrev_b64 v[36:37], 4, v[49:50]
	v_addc_co_u32_e64 v31, s[0:1], v5, v31, s[0:1]
	v_add_co_u32_e64 v4, s[0:1], v4, v36
	v_addc_co_u32_e64 v5, s[0:1], v5, v37, s[0:1]
	global_load_dwordx4 v[36:39], v[30:31], off
	global_load_dwordx4 v[48:51], v[4:5], off
.LBB0_14:
	s_or_b64 exec, exec, s[4:5]
.LBB0_15:
	s_or_b64 exec, exec, s[2:3]
	s_waitcnt vmcnt(5)
	v_add_f64 v[30:31], v[10:11], -v[22:23]
	s_waitcnt vmcnt(4)
	v_add_f64 v[22:23], v[0:1], -v[44:45]
	;; [unrolled: 2-line block ×4, first 2 shown]
	v_add_f64 v[36:37], v[26:27], -v[36:37]
	v_add_f64 v[54:55], v[32:33], -v[48:49]
	;; [unrolled: 1-line block ×3, first 2 shown]
	v_add_u32_e32 v77, 0x160, v76
	v_fma_f64 v[48:49], v[10:11], 2.0, -v[30:31]
	v_fma_f64 v[4:5], v[0:1], 2.0, -v[22:23]
	;; [unrolled: 1-line block ×5, first 2 shown]
	v_add_f64 v[10:11], v[34:35], -v[50:51]
	v_fma_f64 v[32:33], v[32:33], 2.0, -v[54:55]
	v_add_f64 v[0:1], v[8:9], -v[42:43]
	v_add_f64 v[42:43], v[52:53], v[30:31]
	v_add_f64 v[40:41], v[48:49], -v[4:5]
	v_lshl_add_u32 v58, v59, 5, 0
	v_add_f64 v[44:45], v[14:15], -v[6:7]
	v_cmp_gt_u32_e64 s[0:1], 44, v76
	v_add_f64 v[6:7], v[10:11], v[36:37]
	v_add_f64 v[4:5], v[26:27], -v[32:33]
	v_add_f64 v[46:47], v[0:1], v[60:61]
	v_fma_f64 v[50:51], v[30:31], 2.0, -v[42:43]
	v_fma_f64 v[48:49], v[48:49], 2.0, -v[40:41]
	;; [unrolled: 1-line block ×6, first 2 shown]
	v_lshl_add_u32 v15, v76, 5, 0
	v_lshl_add_u32 v14, v77, 5, 0
	ds_write_b128 v15, v[40:43] offset:16
	ds_write_b128 v58, v[44:47] offset:16
	ds_write_b128 v15, v[48:51]
	ds_write_b128 v58, v[60:63]
	s_and_saveexec_b64 s[2:3], s[0:1]
	s_cbranch_execz .LBB0_17
; %bb.16:
	ds_write_b128 v14, v[30:33]
	ds_write_b128 v14, v[4:7] offset:16
.LBB0_17:
	s_or_b64 exec, exec, s[2:3]
	s_movk_i32 s2, 0xffe8
	v_mad_i32_i24 v79, v76, s2, v15
	v_add_u32_e32 v6, 0x1800, v79
	s_waitcnt lgkmcnt(0)
	s_barrier
	ds_read2_b64 v[40:43], v6 offset0:24 offset1:200
	v_mad_i32_i24 v6, v59, s2, v58
	ds_read_b64 v[26:27], v79
	ds_read_b64 v[36:37], v6
	v_add_u32_e32 v6, 0xa00, v79
	ds_read2_b64 v[48:51], v6 offset0:32 offset1:208
	v_add_u32_e32 v6, 0x2200, v79
	ds_read2_b64 v[44:47], v6 offset0:56 offset1:232
	s_movk_i32 s2, 0x58
	v_cmp_gt_u32_e64 s[2:3], s2, v76
	s_and_saveexec_b64 s[4:5], s[2:3]
	s_cbranch_execz .LBB0_19
; %bb.18:
	ds_read_b64 v[30:31], v79 offset:5632
	ds_read_b64 v[32:33], v79 offset:11968
.LBB0_19:
	s_or_b64 exec, exec, s[4:5]
	v_add_f64 v[38:39], v[28:29], -v[38:39]
	v_add_f64 v[60:61], v[12:13], -v[24:25]
	;; [unrolled: 1-line block ×3, first 2 shown]
	v_fma_f64 v[0:1], v[8:9], 2.0, -v[0:1]
	v_fma_f64 v[9:10], v[34:35], 2.0, -v[10:11]
	;; [unrolled: 1-line block ×3, first 2 shown]
	v_mul_i32_i24_e32 v6, 0xffffffe8, v59
	s_waitcnt lgkmcnt(0)
	v_fma_f64 v[28:29], v[28:29], 2.0, -v[38:39]
	v_fma_f64 v[7:8], v[12:13], 2.0, -v[60:61]
	;; [unrolled: 1-line block ×3, first 2 shown]
	v_add_f64 v[12:13], v[38:39], -v[54:55]
	v_add_f64 v[20:21], v[60:61], -v[22:23]
	;; [unrolled: 1-line block ×3, first 2 shown]
	s_barrier
	v_add_f64 v[10:11], v[28:29], -v[9:10]
	v_add_f64 v[18:19], v[7:8], -v[2:3]
	;; [unrolled: 1-line block ×3, first 2 shown]
	v_fma_f64 v[2:3], v[38:39], 2.0, -v[12:13]
	v_fma_f64 v[54:55], v[60:61], 2.0, -v[20:21]
	v_fma_f64 v[62:63], v[62:63], 2.0, -v[24:25]
	v_fma_f64 v[0:1], v[28:29], 2.0, -v[10:11]
	v_fma_f64 v[52:53], v[7:8], 2.0, -v[18:19]
	v_fma_f64 v[60:61], v[16:17], 2.0, -v[22:23]
	ds_write_b128 v15, v[18:21] offset:16
	ds_write_b128 v15, v[52:55]
	ds_write_b128 v58, v[60:63]
	ds_write_b128 v58, v[22:25] offset:16
	s_and_saveexec_b64 s[4:5], s[0:1]
	s_cbranch_execz .LBB0_21
; %bb.20:
	ds_write_b128 v14, v[0:3]
	ds_write_b128 v14, v[10:13] offset:16
.LBB0_21:
	s_or_b64 exec, exec, s[4:5]
	v_add_u32_e32 v7, 0x1800, v79
	v_add_u32_e32 v81, v58, v6
	;; [unrolled: 1-line block ×4, first 2 shown]
	s_waitcnt lgkmcnt(0)
	s_barrier
	ds_read2_b64 v[12:15], v7 offset0:24 offset1:200
	ds_read_b64 v[24:25], v79
	ds_read_b64 v[38:39], v81
	ds_read2_b64 v[6:9], v6 offset0:32 offset1:208
	ds_read2_b64 v[16:19], v16 offset0:56 offset1:232
	s_and_saveexec_b64 s[0:1], s[2:3]
	s_cbranch_execz .LBB0_23
; %bb.22:
	ds_read_b64 v[0:1], v79 offset:5632
	ds_read_b64 v[2:3], v79 offset:11968
.LBB0_23:
	s_or_b64 exec, exec, s[0:1]
	v_and_b32_e32 v66, 3, v76
	v_lshlrev_b32_e32 v20, 4, v66
	global_load_dwordx4 v[20:23], v20, s[8:9]
	v_lshlrev_b32_e32 v60, 1, v59
	s_movk_i32 s1, 0x3f8
	v_and_or_b32 v64, v60, s1, v66
	v_lshl_add_u32 v68, v64, 3, 0
	v_add_u32_e32 v80, 0x210, v76
	v_lshlrev_b32_e32 v58, 1, v76
	s_movk_i32 s0, 0x1f8
	v_lshlrev_b32_e32 v61, 1, v77
	s_movk_i32 s4, 0x7f8
	v_lshlrev_b32_e32 v82, 1, v80
	v_add_u32_e32 v78, 0x2c0, v76
	v_and_or_b32 v59, v58, s0, v66
	v_and_or_b32 v69, v61, s4, v66
	v_lshl_add_u32 v67, v59, 3, 0
	v_lshlrev_b32_e32 v59, 1, v78
	s_waitcnt vmcnt(0) lgkmcnt(0)
	s_barrier
	v_mul_f64 v[28:29], v[12:13], v[22:23]
	v_mul_f64 v[62:63], v[2:3], v[22:23]
	;; [unrolled: 1-line block ×5, first 2 shown]
	v_fma_f64 v[28:29], v[40:41], v[20:21], v[28:29]
	v_fma_f64 v[62:63], v[32:33], v[20:21], v[62:63]
	;; [unrolled: 1-line block ×5, first 2 shown]
	v_add_f64 v[28:29], v[26:27], -v[28:29]
	v_add_f64 v[62:63], v[30:31], -v[62:63]
	v_add_f64 v[34:35], v[36:37], -v[34:35]
	v_add_f64 v[52:53], v[48:49], -v[52:53]
	v_add_f64 v[54:55], v[50:51], -v[54:55]
	v_fma_f64 v[64:65], v[26:27], 2.0, -v[28:29]
	v_fma_f64 v[70:71], v[30:31], 2.0, -v[62:63]
	;; [unrolled: 1-line block ×5, first 2 shown]
	v_and_or_b32 v27, v82, s4, v66
	v_lshl_add_u32 v26, v69, 3, 0
	v_lshl_add_u32 v27, v27, 3, 0
	ds_write2_b64 v67, v[64:65], v[28:29] offset1:4
	ds_write2_b64 v68, v[36:37], v[34:35] offset1:4
	;; [unrolled: 1-line block ×4, first 2 shown]
	s_and_saveexec_b64 s[0:1], s[2:3]
	s_cbranch_execz .LBB0_25
; %bb.24:
	v_and_or_b32 v28, v59, s4, v66
	v_lshl_add_u32 v28, v28, 3, 0
	ds_write2_b64 v28, v[70:71], v[62:63] offset1:4
.LBB0_25:
	s_or_b64 exec, exec, s[0:1]
	v_add_u32_e32 v28, 0x1800, v79
	v_add_u32_e32 v34, 0xa00, v79
	s_waitcnt lgkmcnt(0)
	s_barrier
	ds_read2_b64 v[28:31], v28 offset0:24 offset1:200
	ds_read_b64 v[72:73], v79
	ds_read_b64 v[74:75], v81
	ds_read2_b64 v[52:55], v34 offset0:32 offset1:208
	v_add_u32_e32 v34, 0x2200, v79
	ds_read2_b64 v[34:37], v34 offset0:56 offset1:232
	s_and_saveexec_b64 s[0:1], s[2:3]
	s_cbranch_execz .LBB0_27
; %bb.26:
	ds_read_b64 v[70:71], v79 offset:5632
	ds_read_b64 v[62:63], v79 offset:11968
.LBB0_27:
	s_or_b64 exec, exec, s[0:1]
	v_mul_f64 v[40:41], v[40:41], v[22:23]
	v_mul_f64 v[42:43], v[42:43], v[22:23]
	;; [unrolled: 1-line block ×5, first 2 shown]
	s_waitcnt lgkmcnt(0)
	s_barrier
	v_fma_f64 v[12:13], v[12:13], v[20:21], -v[40:41]
	v_fma_f64 v[14:15], v[14:15], v[20:21], -v[42:43]
	;; [unrolled: 1-line block ×5, first 2 shown]
	v_add_f64 v[12:13], v[24:25], -v[12:13]
	v_add_f64 v[14:15], v[38:39], -v[14:15]
	;; [unrolled: 1-line block ×5, first 2 shown]
	v_fma_f64 v[2:3], v[24:25], 2.0, -v[12:13]
	v_fma_f64 v[20:21], v[38:39], 2.0, -v[14:15]
	;; [unrolled: 1-line block ×5, first 2 shown]
	ds_write2_b64 v67, v[2:3], v[12:13] offset1:4
	ds_write2_b64 v68, v[20:21], v[14:15] offset1:4
	;; [unrolled: 1-line block ×4, first 2 shown]
	s_and_saveexec_b64 s[0:1], s[2:3]
	s_cbranch_execz .LBB0_29
; %bb.28:
	v_and_or_b32 v0, v59, s4, v66
	v_lshl_add_u32 v0, v0, 3, 0
	ds_write2_b64 v0, v[64:65], v[32:33] offset1:4
.LBB0_29:
	s_or_b64 exec, exec, s[0:1]
	v_add_u32_e32 v0, 0x1800, v79
	v_add_u32_e32 v6, 0xa00, v79
	s_waitcnt lgkmcnt(0)
	s_barrier
	ds_read2_b64 v[0:3], v0 offset0:24 offset1:200
	ds_read_b64 v[66:67], v79
	ds_read_b64 v[68:69], v81
	ds_read2_b64 v[44:47], v6 offset0:32 offset1:208
	v_add_u32_e32 v6, 0x2200, v79
	ds_read2_b64 v[38:41], v6 offset0:56 offset1:232
	s_and_saveexec_b64 s[0:1], s[2:3]
	s_cbranch_execz .LBB0_31
; %bb.30:
	ds_read_b64 v[64:65], v79 offset:5632
	ds_read_b64 v[32:33], v79 offset:11968
.LBB0_31:
	s_or_b64 exec, exec, s[0:1]
	v_and_b32_e32 v83, 7, v76
	v_lshlrev_b32_e32 v6, 4, v83
	global_load_dwordx4 v[48:51], v6, s[8:9] offset:64
	s_movk_i32 s0, 0x1f0
	s_movk_i32 s4, 0x7f0
	v_and_or_b32 v24, v58, s0, v83
	v_and_or_b32 v84, v82, s4, v83
	v_lshl_add_u32 v82, v24, 3, 0
	s_movk_i32 s1, 0x3f0
	v_and_or_b32 v42, v60, s1, v83
	v_and_or_b32 v43, v61, s4, v83
	s_waitcnt vmcnt(0) lgkmcnt(0)
	s_barrier
	v_mul_f64 v[6:7], v[0:1], v[50:51]
	v_mul_f64 v[8:9], v[2:3], v[50:51]
	;; [unrolled: 1-line block ×5, first 2 shown]
	v_fma_f64 v[6:7], v[28:29], v[48:49], v[6:7]
	v_fma_f64 v[18:19], v[30:31], v[48:49], v[8:9]
	;; [unrolled: 1-line block ×5, first 2 shown]
	v_add_f64 v[8:9], v[72:73], -v[6:7]
	v_add_f64 v[14:15], v[74:75], -v[18:19]
	;; [unrolled: 1-line block ×5, first 2 shown]
	v_fma_f64 v[6:7], v[72:73], 2.0, -v[8:9]
	v_fma_f64 v[12:13], v[74:75], 2.0, -v[14:15]
	;; [unrolled: 1-line block ×5, first 2 shown]
	v_lshl_add_u32 v52, v42, 3, 0
	v_lshl_add_u32 v53, v43, 3, 0
	;; [unrolled: 1-line block ×3, first 2 shown]
	ds_write2_b64 v82, v[6:7], v[8:9] offset1:8
	ds_write2_b64 v52, v[12:13], v[14:15] offset1:8
	;; [unrolled: 1-line block ×4, first 2 shown]
	s_and_saveexec_b64 s[0:1], s[2:3]
	s_cbranch_execz .LBB0_33
; %bb.32:
	v_and_or_b32 v42, v59, s4, v83
	v_lshl_add_u32 v42, v42, 3, 0
	ds_write2_b64 v42, v[24:25], v[26:27] offset1:8
.LBB0_33:
	s_or_b64 exec, exec, s[0:1]
	s_movk_i32 s0, 0x90
	v_cmp_gt_u32_e64 s[0:1], s0, v76
	s_waitcnt lgkmcnt(0)
	s_barrier
	s_and_saveexec_b64 s[4:5], s[0:1]
	s_cbranch_execz .LBB0_35
; %bb.34:
	v_add_u32_e32 v4, 0x800, v79
	ds_read2_b64 v[12:15], v4 offset0:32 offset1:176
	v_add_u32_e32 v4, 0x1000, v79
	ds_read2_b64 v[16:19], v4 offset0:64 offset1:208
	;; [unrolled: 2-line block ×3, first 2 shown]
	v_add_u32_e32 v4, 0x2400, v79
	ds_read2_b64 v[6:9], v79 offset1:144
	ds_read2_b64 v[24:27], v4 offset1:144
	ds_read_b64 v[4:5], v79 offset:11520
.LBB0_35:
	s_or_b64 exec, exec, s[4:5]
	v_mul_f64 v[28:29], v[28:29], v[50:51]
	v_mul_f64 v[30:31], v[30:31], v[50:51]
	;; [unrolled: 1-line block ×5, first 2 shown]
	s_waitcnt lgkmcnt(0)
	s_barrier
	v_fma_f64 v[0:1], v[0:1], v[48:49], -v[28:29]
	v_fma_f64 v[28:29], v[2:3], v[48:49], -v[30:31]
	;; [unrolled: 1-line block ×5, first 2 shown]
	v_add_f64 v[2:3], v[66:67], -v[0:1]
	v_add_f64 v[30:31], v[68:69], -v[28:29]
	;; [unrolled: 1-line block ×5, first 2 shown]
	v_fma_f64 v[0:1], v[66:67], 2.0, -v[2:3]
	v_fma_f64 v[28:29], v[68:69], 2.0, -v[30:31]
	;; [unrolled: 1-line block ×5, first 2 shown]
	ds_write2_b64 v82, v[0:1], v[2:3] offset1:8
	ds_write2_b64 v52, v[28:29], v[30:31] offset1:8
	ds_write2_b64 v53, v[32:33], v[34:35] offset1:8
	ds_write2_b64 v54, v[36:37], v[38:39] offset1:8
	s_and_saveexec_b64 s[4:5], s[2:3]
	s_cbranch_execz .LBB0_37
; %bb.36:
	s_movk_i32 s2, 0x7f0
	v_and_or_b32 v44, v59, s2, v83
	v_lshl_add_u32 v44, v44, 3, 0
	ds_write2_b64 v44, v[40:41], v[42:43] offset1:8
.LBB0_37:
	s_or_b64 exec, exec, s[4:5]
	s_waitcnt lgkmcnt(0)
	s_barrier
	s_and_saveexec_b64 s[2:3], s[0:1]
	s_cbranch_execz .LBB0_39
; %bb.38:
	v_add_u32_e32 v10, 0x800, v79
	ds_read2_b64 v[28:31], v10 offset0:32 offset1:176
	v_add_u32_e32 v10, 0x1000, v79
	ds_read2_b64 v[32:35], v10 offset0:64 offset1:208
	;; [unrolled: 2-line block ×3, first 2 shown]
	v_add_u32_e32 v10, 0x2400, v79
	ds_read2_b64 v[0:3], v79 offset1:144
	ds_read2_b64 v[40:43], v10 offset1:144
	ds_read_b64 v[10:11], v79 offset:11520
.LBB0_39:
	s_or_b64 exec, exec, s[2:3]
	v_and_b32_e32 v59, 15, v76
	v_mul_u32_u24_e32 v44, 10, v59
	v_lshlrev_b32_e32 v48, 4, v44
	global_load_dwordx4 v[44:47], v48, s[8:9] offset:192
	global_load_dwordx4 v[50:53], v48, s[8:9] offset:208
	;; [unrolled: 1-line block ×10, first 2 shown]
	s_waitcnt vmcnt(0) lgkmcnt(0)
	s_barrier
	v_mul_f64 v[48:49], v[2:3], v[46:47]
	v_mul_f64 v[46:47], v[8:9], v[46:47]
	;; [unrolled: 1-line block ×17, first 2 shown]
	v_fma_f64 v[52:53], v[8:9], v[44:45], v[48:49]
	v_fma_f64 v[54:55], v[2:3], v[44:45], -v[46:47]
	v_mul_f64 v[2:3], v[26:27], v[96:97]
	v_mul_f64 v[8:9], v[10:11], v[100:101]
	v_fma_f64 v[48:49], v[12:13], v[50:51], v[74:75]
	v_mul_f64 v[12:13], v[4:5], v[100:101]
	v_fma_f64 v[50:51], v[28:29], v[50:51], -v[102:103]
	v_fma_f64 v[44:45], v[14:15], v[62:63], v[104:105]
	v_fma_f64 v[46:47], v[30:31], v[62:63], -v[64:65]
	v_fma_f64 v[28:29], v[16:17], v[66:67], v[106:107]
	;; [unrolled: 2-line block ×8, first 2 shown]
	v_fma_f64 v[26:27], v[10:11], v[98:99], -v[12:13]
	v_lshrrev_b32_e32 v66, 4, v76
	s_and_saveexec_b64 s[2:3], s[0:1]
	s_cbranch_execz .LBB0_41
; %bb.40:
	v_add_f64 v[2:3], v[54:55], -v[26:27]
	s_mov_b32 s6, 0xfd768dbf
	s_mov_b32 s7, 0xbfd207e7
	v_add_f64 v[10:11], v[50:51], -v[36:37]
	v_add_f64 v[12:13], v[52:53], v[62:63]
	s_mov_b32 s10, 0xf8bb580b
	s_mov_b32 s4, 0x9bcd5057
	;; [unrolled: 1-line block ×3, first 2 shown]
	v_mul_f64 v[40:41], v[2:3], s[6:7]
	s_mov_b32 s5, 0xbfeeb42a
	v_add_f64 v[42:43], v[46:47], -v[34:35]
	v_add_f64 v[64:65], v[48:49], v[38:39]
	v_mul_f64 v[67:68], v[10:11], s[10:11]
	s_mov_b32 s18, 0xbb3a28a1
	s_mov_b32 s16, 0x8764f0ba
	;; [unrolled: 1-line block ×3, first 2 shown]
	v_fma_f64 v[69:70], v[12:13], s[4:5], -v[40:41]
	s_mov_b32 s17, 0x3feaeb8c
	v_add_f64 v[8:9], v[44:45], v[24:25]
	v_fma_f64 v[40:41], v[12:13], s[4:5], v[40:41]
	v_add_f64 v[71:72], v[30:31], -v[32:33]
	v_mul_f64 v[73:74], v[42:43], s[18:19]
	v_fma_f64 v[82:83], v[64:65], s[16:17], -v[67:68]
	s_mov_b32 s20, 0x7f775887
	v_add_f64 v[69:70], v[6:7], v[69:70]
	s_mov_b32 s25, 0x3fed1bb4
	s_mov_b32 s24, 0x8eee2c13
	;; [unrolled: 1-line block ×3, first 2 shown]
	v_add_f64 v[4:5], v[28:29], v[22:23]
	v_fma_f64 v[67:68], v[64:65], s[16:17], v[67:68]
	v_add_f64 v[40:41], v[6:7], v[40:41]
	v_mul_f64 v[84:85], v[71:72], s[24:25]
	v_fma_f64 v[86:87], v[8:9], s[20:21], -v[73:74]
	v_add_f64 v[69:70], v[82:83], v[69:70]
	v_mul_f64 v[82:83], v[2:3], s[18:19]
	s_mov_b32 s22, 0xd9c712b6
	s_mov_b32 s28, 0x43842ef
	;; [unrolled: 1-line block ×6, first 2 shown]
	v_fma_f64 v[73:74], v[8:9], s[20:21], v[73:74]
	v_fma_f64 v[88:89], v[4:5], s[22:23], -v[84:85]
	v_add_f64 v[40:41], v[67:68], v[40:41]
	v_add_f64 v[67:68], v[86:87], v[69:70]
	v_add_f64 v[69:70], v[18:19], -v[20:21]
	v_fma_f64 v[86:87], v[12:13], s[20:21], -v[82:83]
	v_mul_f64 v[90:91], v[10:11], s[30:31]
	v_fma_f64 v[82:83], v[12:13], s[20:21], v[82:83]
	s_mov_b32 s26, 0x640f44db
	s_mov_b32 s27, 0xbfc2375f
	;; [unrolled: 1-line block ×4, first 2 shown]
	v_fma_f64 v[84:85], v[4:5], s[22:23], v[84:85]
	v_add_f64 v[40:41], v[73:74], v[40:41]
	v_add_f64 v[73:74], v[14:15], v[16:17]
	v_mul_f64 v[92:93], v[69:70], s[28:29]
	v_add_f64 v[86:87], v[6:7], v[86:87]
	v_fma_f64 v[94:95], v[64:65], s[26:27], -v[90:91]
	v_mul_f64 v[96:97], v[42:43], s[34:35]
	v_add_f64 v[67:68], v[88:89], v[67:68]
	v_mul_f64 v[88:89], v[2:3], s[28:29]
	v_fma_f64 v[90:91], v[64:65], s[26:27], v[90:91]
	v_add_f64 v[82:83], v[6:7], v[82:83]
	s_mov_b32 s37, 0x3fd207e7
	s_mov_b32 s36, s6
	v_add_f64 v[40:41], v[84:85], v[40:41]
	v_fma_f64 v[84:85], v[73:74], s[26:27], -v[92:93]
	v_add_f64 v[86:87], v[94:95], v[86:87]
	v_fma_f64 v[94:95], v[8:9], s[16:17], -v[96:97]
	v_mul_f64 v[98:99], v[71:72], s[6:7]
	v_fma_f64 v[100:101], v[12:13], s[26:27], -v[88:89]
	v_mul_f64 v[102:103], v[10:11], s[36:37]
	v_add_f64 v[82:83], v[90:91], v[82:83]
	v_fma_f64 v[90:91], v[8:9], s[16:17], v[96:97]
	v_fma_f64 v[88:89], v[12:13], s[26:27], v[88:89]
	;; [unrolled: 1-line block ×3, first 2 shown]
	v_add_f64 v[86:87], v[94:95], v[86:87]
	v_fma_f64 v[94:95], v[4:5], s[4:5], -v[98:99]
	v_add_f64 v[67:68], v[84:85], v[67:68]
	v_mul_f64 v[84:85], v[69:70], s[24:25]
	v_add_f64 v[100:101], v[6:7], v[100:101]
	v_fma_f64 v[104:105], v[64:65], s[4:5], -v[102:103]
	v_mul_f64 v[106:107], v[42:43], s[24:25]
	v_add_f64 v[82:83], v[90:91], v[82:83]
	v_fma_f64 v[90:91], v[64:65], s[4:5], v[102:103]
	v_add_f64 v[88:89], v[6:7], v[88:89]
	v_add_f64 v[102:103], v[6:7], v[52:53]
	s_mov_b32 s25, 0xbfed1bb4
	v_add_f64 v[40:41], v[92:93], v[40:41]
	v_add_f64 v[86:87], v[94:95], v[86:87]
	v_fma_f64 v[92:93], v[73:74], s[22:23], -v[84:85]
	v_add_f64 v[94:95], v[104:105], v[100:101]
	v_fma_f64 v[96:97], v[8:9], s[22:23], -v[106:107]
	v_mul_f64 v[100:101], v[71:72], s[34:35]
	v_mul_f64 v[104:105], v[2:3], s[24:25]
	v_add_f64 v[88:89], v[90:91], v[88:89]
	v_add_f64 v[90:91], v[102:103], v[48:49]
	v_fma_f64 v[98:99], v[4:5], s[4:5], v[98:99]
	v_add_f64 v[86:87], v[92:93], v[86:87]
	v_mul_f64 v[92:93], v[10:11], s[18:19]
	v_add_f64 v[94:95], v[96:97], v[94:95]
	v_fma_f64 v[96:97], v[4:5], s[16:17], -v[100:101]
	v_fma_f64 v[108:109], v[12:13], s[22:23], -v[104:105]
	v_mul_f64 v[2:3], v[2:3], s[34:35]
	v_add_f64 v[90:91], v[90:91], v[44:45]
	v_add_f64 v[82:83], v[98:99], v[82:83]
	v_fma_f64 v[98:99], v[12:13], s[22:23], v[104:105]
	v_fma_f64 v[104:105], v[64:65], s[20:21], -v[92:93]
	v_fma_f64 v[102:103], v[8:9], s[22:23], v[106:107]
	v_add_f64 v[94:95], v[96:97], v[94:95]
	v_add_f64 v[96:97], v[6:7], v[108:109]
	v_mul_f64 v[106:107], v[42:43], s[36:37]
	v_add_f64 v[90:91], v[90:91], v[28:29]
	v_fma_f64 v[92:93], v[64:65], s[20:21], v[92:93]
	v_add_f64 v[98:99], v[6:7], v[98:99]
	v_mul_f64 v[10:11], v[10:11], s[24:25]
	v_mul_f64 v[42:43], v[42:43], s[28:29]
	v_add_f64 v[88:89], v[102:103], v[88:89]
	v_add_f64 v[96:97], v[104:105], v[96:97]
	v_fma_f64 v[104:105], v[12:13], s[16:17], v[2:3]
	v_fma_f64 v[2:3], v[12:13], s[16:17], -v[2:3]
	v_add_f64 v[90:91], v[90:91], v[14:15]
	v_add_f64 v[12:13], v[92:93], v[98:99]
	v_fma_f64 v[92:93], v[8:9], s[4:5], v[106:107]
	v_fma_f64 v[98:99], v[64:65], s[22:23], v[10:11]
	v_fma_f64 v[100:101], v[4:5], s[16:17], v[100:101]
	v_mul_f64 v[108:109], v[71:72], s[30:31]
	v_add_f64 v[104:105], v[6:7], v[104:105]
	v_add_f64 v[2:3], v[6:7], v[2:3]
	v_fma_f64 v[6:7], v[64:65], s[22:23], -v[10:11]
	v_add_f64 v[64:65], v[90:91], v[16:17]
	v_add_f64 v[12:13], v[92:93], v[12:13]
	v_fma_f64 v[90:91], v[8:9], s[26:27], v[42:43]
	v_mul_f64 v[71:72], v[71:72], s[18:19]
	v_fma_f64 v[102:103], v[8:9], s[4:5], -v[106:107]
	v_add_f64 v[92:93], v[98:99], v[104:105]
	v_fma_f64 v[98:99], v[4:5], s[26:27], v[108:109]
	v_add_f64 v[2:3], v[6:7], v[2:3]
	v_fma_f64 v[6:7], v[8:9], s[26:27], -v[42:43]
	v_add_f64 v[42:43], v[64:65], v[22:23]
	v_add_f64 v[8:9], v[100:101], v[88:89]
	v_fma_f64 v[88:89], v[4:5], s[20:21], v[71:72]
	v_add_f64 v[96:97], v[102:103], v[96:97]
	v_add_f64 v[64:65], v[90:91], v[92:93]
	v_mul_f64 v[90:91], v[69:70], s[18:19]
	v_fma_f64 v[10:11], v[4:5], s[26:27], -v[108:109]
	v_add_f64 v[2:3], v[6:7], v[2:3]
	v_mul_f64 v[6:7], v[69:70], s[6:7]
	v_add_f64 v[42:43], v[42:43], v[24:25]
	v_mul_f64 v[69:70], v[69:70], s[10:11]
	v_fma_f64 v[4:5], v[4:5], s[20:21], -v[71:72]
	v_add_f64 v[64:65], v[88:89], v[64:65]
	v_fma_f64 v[71:72], v[73:74], s[22:23], v[84:85]
	v_fma_f64 v[84:85], v[73:74], s[20:21], -v[90:91]
	v_fma_f64 v[88:89], v[73:74], s[20:21], v[90:91]
	v_fma_f64 v[90:91], v[73:74], s[4:5], v[6:7]
	v_add_f64 v[42:43], v[42:43], v[38:39]
	v_add_f64 v[12:13], v[98:99], v[12:13]
	v_fma_f64 v[92:93], v[73:74], s[16:17], v[69:70]
	v_add_f64 v[10:11], v[10:11], v[96:97]
	v_fma_f64 v[69:70], v[73:74], s[16:17], -v[69:70]
	v_fma_f64 v[6:7], v[73:74], s[4:5], -v[6:7]
	v_add_f64 v[2:3], v[4:5], v[2:3]
	v_add_f64 v[64:65], v[90:91], v[64:65]
	;; [unrolled: 1-line block ×9, first 2 shown]
	v_mul_u32_u24_e32 v6, 0xb0, v66
	v_or_b32_e32 v6, v6, v59
	v_lshl_add_u32 v6, v6, 3, 0
	ds_write2_b64 v6, v[42:43], v[64:65] offset1:16
	ds_write2_b64 v6, v[12:13], v[8:9] offset0:32 offset1:48
	ds_write2_b64 v6, v[4:5], v[40:41] offset0:64 offset1:80
	;; [unrolled: 1-line block ×4, first 2 shown]
	ds_write_b64 v6, v[2:3] offset:1280
.LBB0_41:
	s_or_b64 exec, exec, s[2:3]
	v_add_u32_e32 v67, 0xa00, v79
	v_add_u32_e32 v69, 0x2000, v79
	;; [unrolled: 1-line block ×3, first 2 shown]
	s_waitcnt lgkmcnt(0)
	s_barrier
	ds_read_b64 v[40:41], v79
	ds_read2_b64 v[2:5], v67 offset0:32 offset1:208
	ds_read2_b64 v[6:9], v69 offset0:32 offset1:208
	;; [unrolled: 1-line block ×3, first 2 shown]
	ds_read_b64 v[42:43], v81
	ds_read_b64 v[64:65], v79 offset:11264
	s_waitcnt lgkmcnt(0)
	s_barrier
	s_and_saveexec_b64 s[2:3], s[0:1]
	s_cbranch_execz .LBB0_43
; %bb.42:
	v_add_f64 v[70:71], v[0:1], v[54:55]
	v_add_f64 v[52:53], v[52:53], -v[62:63]
	v_add_f64 v[54:55], v[54:55], v[26:27]
	s_mov_b32 s6, 0x8764f0ba
	s_mov_b32 s16, 0xd9c712b6
	;; [unrolled: 1-line block ×4, first 2 shown]
	v_add_f64 v[38:39], v[48:49], -v[38:39]
	v_add_f64 v[62:63], v[70:71], v[50:51]
	v_add_f64 v[50:51], v[50:51], v[36:37]
	v_mul_f64 v[48:49], v[54:55], s[6:7]
	v_mul_f64 v[70:71], v[54:55], s[16:17]
	s_mov_b32 s0, 0xf8bb580b
	s_mov_b32 s10, 0x8eee2c13
	;; [unrolled: 1-line block ×4, first 2 shown]
	v_add_f64 v[62:63], v[62:63], v[46:47]
	s_mov_b32 s36, 0x9bcd5057
	s_mov_b32 s1, 0x3fe14ced
	;; [unrolled: 1-line block ×6, first 2 shown]
	v_mul_f64 v[72:73], v[54:55], s[22:23]
	v_add_f64 v[62:63], v[62:63], v[30:31]
	v_mul_f64 v[74:75], v[54:55], s[30:31]
	v_mul_f64 v[54:55], v[54:55], s[36:37]
	;; [unrolled: 1-line block ×4, first 2 shown]
	v_fma_f64 v[88:89], v[52:53], s[0:1], v[48:49]
	v_fma_f64 v[90:91], v[52:53], s[10:11], v[70:71]
	s_mov_b32 s20, 0x43842ef
	v_add_f64 v[62:63], v[62:63], v[18:19]
	s_mov_b32 s26, 0xbb3a28a1
	s_mov_b32 s34, 0xfd768dbf
	;; [unrolled: 1-line block ×7, first 2 shown]
	v_add_f64 v[62:63], v[62:63], v[20:21]
	s_mov_b32 s29, 0xbfe82f19
	s_mov_b32 s35, 0x3fd207e7
	s_mov_b32 s39, 0xbfd207e7
	s_mov_b32 s4, s0
	s_mov_b32 s18, s10
	s_mov_b32 s24, s20
	s_mov_b32 s28, s26
	v_add_f64 v[62:63], v[62:63], v[32:33]
	s_mov_b32 s38, s34
	v_mul_f64 v[86:87], v[50:51], s[36:37]
	v_fma_f64 v[48:49], v[52:53], s[4:5], v[48:49]
	v_fma_f64 v[70:71], v[52:53], s[18:19], v[70:71]
	;; [unrolled: 1-line block ×5, first 2 shown]
	v_add_f64 v[62:63], v[62:63], v[34:35]
	v_fma_f64 v[74:75], v[52:53], s[28:29], v[74:75]
	v_fma_f64 v[96:97], v[52:53], s[34:35], v[54:55]
	;; [unrolled: 1-line block ×4, first 2 shown]
	v_add_f64 v[88:89], v[0:1], v[88:89]
	v_fma_f64 v[82:83], v[38:39], s[18:19], v[82:83]
	v_add_f64 v[48:49], v[0:1], v[48:49]
	v_add_f64 v[36:37], v[62:63], v[36:37]
	;; [unrolled: 1-line block ×10, first 2 shown]
	v_fma_f64 v[36:37], v[38:39], s[26:27], v[84:85]
	v_add_f64 v[0:1], v[0:1], v[52:53]
	v_add_f64 v[52:53], v[54:55], v[88:89]
	v_fma_f64 v[54:55], v[38:39], s[28:29], v[84:85]
	v_mul_f64 v[84:85], v[50:51], s[22:23]
	v_add_f64 v[34:35], v[46:47], v[34:35]
	v_mul_f64 v[50:51], v[50:51], s[6:7]
	v_add_f64 v[48:49], v[82:83], v[48:49]
	v_add_f64 v[36:37], v[36:37], v[62:63]
	v_fma_f64 v[62:63], v[38:39], s[34:35], v[86:87]
	v_add_f64 v[24:25], v[44:45], -v[24:25]
	v_add_f64 v[54:55], v[54:55], v[70:71]
	v_fma_f64 v[70:71], v[38:39], s[24:25], v[84:85]
	v_mul_f64 v[44:45], v[34:35], s[22:23]
	v_fma_f64 v[82:83], v[38:39], s[20:21], v[84:85]
	v_fma_f64 v[84:85], v[38:39], s[4:5], v[50:51]
	v_add_f64 v[30:31], v[30:31], v[32:33]
	v_add_f64 v[62:63], v[62:63], v[72:73]
	v_mul_f64 v[72:73], v[34:35], s[36:37]
	v_fma_f64 v[46:47], v[38:39], s[38:39], v[86:87]
	v_fma_f64 v[38:39], v[38:39], s[0:1], v[50:51]
	;; [unrolled: 1-line block ×4, first 2 shown]
	v_add_f64 v[74:75], v[82:83], v[74:75]
	v_add_f64 v[82:83], v[84:85], v[94:95]
	v_mul_f64 v[84:85], v[34:35], s[16:17]
	v_fma_f64 v[86:87], v[24:25], s[38:39], v[72:73]
	v_fma_f64 v[72:73], v[24:25], s[34:35], v[72:73]
	v_mul_f64 v[32:33], v[34:35], s[6:7]
	v_mul_f64 v[34:35], v[34:35], s[30:31]
	v_add_f64 v[22:23], v[28:29], -v[22:23]
	v_mul_f64 v[28:29], v[30:31], s[30:31]
	v_add_f64 v[46:47], v[46:47], v[90:91]
	v_add_f64 v[70:71], v[70:71], v[92:93]
	;; [unrolled: 1-line block ×5, first 2 shown]
	v_fma_f64 v[48:49], v[24:25], s[18:19], v[84:85]
	v_add_f64 v[50:51], v[72:73], v[54:55]
	v_fma_f64 v[52:53], v[24:25], s[10:11], v[84:85]
	v_fma_f64 v[54:55], v[24:25], s[0:1], v[32:33]
	;; [unrolled: 1-line block ×6, first 2 shown]
	v_add_f64 v[46:47], v[48:49], v[46:47]
	v_mul_f64 v[48:49], v[30:31], s[22:23]
	v_add_f64 v[18:19], v[18:19], v[20:21]
	v_add_f64 v[54:55], v[54:55], v[70:71]
	v_fma_f64 v[28:29], v[22:23], s[28:29], v[28:29]
	v_add_f64 v[70:71], v[72:73], v[82:83]
	v_mul_f64 v[72:73], v[30:31], s[6:7]
	v_add_f64 v[0:1], v[24:25], v[0:1]
	v_add_f64 v[24:25], v[34:35], v[38:39]
	v_mul_f64 v[34:35], v[30:31], s[36:37]
	v_add_f64 v[52:53], v[52:53], v[62:63]
	v_fma_f64 v[62:63], v[22:23], s[24:25], v[48:49]
	v_add_f64 v[32:33], v[32:33], v[74:75]
	v_fma_f64 v[20:21], v[22:23], s[20:21], v[48:49]
	v_fma_f64 v[38:39], v[22:23], s[0:1], v[72:73]
	v_mul_f64 v[30:31], v[30:31], s[16:17]
	v_add_f64 v[14:15], v[14:15], -v[16:17]
	v_fma_f64 v[48:49], v[22:23], s[34:35], v[34:35]
	v_fma_f64 v[34:35], v[22:23], s[38:39], v[34:35]
	v_mul_f64 v[16:17], v[18:19], s[36:37]
	v_add_f64 v[28:29], v[28:29], v[44:45]
	v_fma_f64 v[44:45], v[22:23], s[4:5], v[72:73]
	v_add_f64 v[36:37], v[86:87], v[36:37]
	v_add_f64 v[20:21], v[20:21], v[50:51]
	;; [unrolled: 1-line block ×3, first 2 shown]
	v_fma_f64 v[46:47], v[22:23], s[18:19], v[30:31]
	v_fma_f64 v[22:23], v[22:23], s[10:11], v[30:31]
	v_add_f64 v[30:31], v[34:35], v[32:33]
	v_fma_f64 v[32:33], v[14:15], s[34:35], v[16:17]
	v_fma_f64 v[16:17], v[14:15], s[38:39], v[16:17]
	v_mul_f64 v[34:35], v[18:19], s[6:7]
	v_mul_f64 v[50:51], v[18:19], s[30:31]
	v_add_f64 v[44:45], v[44:45], v[52:53]
	v_mul_f64 v[52:53], v[18:19], s[16:17]
	v_mul_f64 v[18:19], v[18:19], s[22:23]
	v_add_f64 v[36:37], v[62:63], v[36:37]
	v_add_f64 v[0:1], v[22:23], v[0:1]
	;; [unrolled: 1-line block ×4, first 2 shown]
	v_fma_f64 v[24:25], v[14:15], s[4:5], v[34:35]
	v_fma_f64 v[28:29], v[14:15], s[0:1], v[34:35]
	;; [unrolled: 1-line block ×3, first 2 shown]
	v_add_f64 v[48:49], v[48:49], v[54:55]
	v_add_f64 v[46:47], v[46:47], v[70:71]
	v_fma_f64 v[34:35], v[14:15], s[18:19], v[52:53]
	v_fma_f64 v[54:55], v[14:15], s[20:21], v[18:19]
	;; [unrolled: 1-line block ×5, first 2 shown]
	v_add_f64 v[24:25], v[24:25], v[36:37]
	v_add_f64 v[20:21], v[28:29], v[20:21]
	;; [unrolled: 1-line block ×8, first 2 shown]
	v_mul_u32_u24_e32 v18, 0xb0, v66
	v_or_b32_e32 v18, v18, v59
	v_lshl_add_u32 v18, v18, 3, 0
	ds_write2_b64 v18, v[26:27], v[22:23] offset1:16
	ds_write2_b64 v18, v[24:25], v[28:29] offset0:32 offset1:48
	ds_write2_b64 v18, v[32:33], v[34:35] offset0:64 offset1:80
	;; [unrolled: 1-line block ×4, first 2 shown]
	ds_write_b64 v18, v[16:17] offset:1280
.LBB0_43:
	s_or_b64 exec, exec, s[2:3]
	v_mov_b32_e32 v59, 0
	v_lshlrev_b64 v[0:1], 4, v[58:59]
	v_mov_b32_e32 v15, s9
	v_add_co_u32_e64 v14, s[0:1], s8, v0
	v_addc_co_u32_e64 v15, s[0:1], v15, v1, s[0:1]
	s_mov_b32 s0, 0xba2f
	v_mul_u32_u24_sdwa v0, v77, s0 dst_sel:DWORD dst_unused:UNUSED_PAD src0_sel:WORD_0 src1_sel:DWORD
	v_lshrrev_b32_e32 v0, 23, v0
	s_waitcnt lgkmcnt(0)
	s_barrier
	global_load_dwordx4 v[16:19], v[14:15], off offset:2752
	global_load_dwordx4 v[20:23], v[14:15], off offset:2768
	v_mul_lo_u16_e32 v0, 0xb0, v0
	v_sub_u16_e32 v52, v77, v0
	v_lshlrev_b32_e32 v0, 5, v52
	global_load_dwordx4 v[24:27], v0, s[8:9] offset:2752
	global_load_dwordx4 v[28:31], v0, s[8:9] offset:2768
	ds_read2_b64 v[32:35], v67 offset0:32 offset1:208
	ds_read2_b64 v[36:39], v69 offset0:32 offset1:208
	ds_read_b64 v[0:1], v81
	ds_read2_b64 v[44:47], v68 offset0:64 offset1:240
	ds_read_b64 v[48:49], v79
	ds_read_b64 v[50:51], v79 offset:11264
	v_lshl_add_u32 v58, v52, 3, 0
	s_mov_b32 s2, 0xe8584caa
	s_mov_b32 s3, 0xbfebb67a
	s_mov_b32 s5, 0x3febb67a
	s_mov_b32 s4, s2
	s_waitcnt vmcnt(0) lgkmcnt(0)
	s_barrier
	v_add_u32_e32 v66, 0x2000, v58
	v_mul_f64 v[52:53], v[34:35], v[18:19]
	v_mul_f64 v[62:63], v[36:37], v[22:23]
	;; [unrolled: 1-line block ×12, first 2 shown]
	v_fma_f64 v[4:5], v[4:5], v[16:17], v[52:53]
	v_fma_f64 v[6:7], v[6:7], v[20:21], v[62:63]
	v_fma_f64 v[34:35], v[34:35], v[16:17], -v[54:55]
	v_fma_f64 v[36:37], v[36:37], v[20:21], -v[70:71]
	v_fma_f64 v[10:11], v[10:11], v[16:17], v[72:73]
	v_fma_f64 v[8:9], v[8:9], v[20:21], v[74:75]
	v_fma_f64 v[16:17], v[44:45], v[16:17], -v[18:19]
	v_fma_f64 v[18:19], v[38:39], v[20:21], -v[22:23]
	;; [unrolled: 4-line block ×3, first 2 shown]
	v_add_f64 v[26:27], v[40:41], v[4:5]
	v_add_f64 v[28:29], v[4:5], v[6:7]
	v_add_f64 v[30:31], v[34:35], -v[36:37]
	v_add_f64 v[38:39], v[48:49], v[34:35]
	v_add_f64 v[34:35], v[34:35], v[36:37]
	;; [unrolled: 1-line block ×4, first 2 shown]
	v_add_f64 v[4:5], v[4:5], -v[6:7]
	v_add_f64 v[50:51], v[16:17], -v[18:19]
	v_add_f64 v[52:53], v[0:1], v[16:17]
	v_add_f64 v[16:17], v[16:17], v[18:19]
	v_add_f64 v[64:65], v[20:21], -v[24:25]
	v_add_f64 v[70:71], v[32:33], v[20:21]
	v_add_f64 v[20:21], v[20:21], v[24:25]
	;; [unrolled: 1-line block ×3, first 2 shown]
	v_fma_f64 v[26:27], v[28:29], -0.5, v[40:41]
	v_add_f64 v[44:45], v[42:43], v[10:11]
	v_add_f64 v[54:55], v[2:3], v[12:13]
	;; [unrolled: 1-line block ×3, first 2 shown]
	v_fma_f64 v[34:35], v[34:35], -0.5, v[48:49]
	v_fma_f64 v[36:37], v[46:47], -0.5, v[42:43]
	v_fma_f64 v[2:3], v[62:63], -0.5, v[2:3]
	v_add_f64 v[10:11], v[10:11], -v[8:9]
	v_add_f64 v[12:13], v[12:13], -v[22:23]
	v_add_f64 v[38:39], v[52:53], v[18:19]
	v_fma_f64 v[0:1], v[16:17], -0.5, v[0:1]
	v_fma_f64 v[18:19], v[20:21], -0.5, v[32:33]
	v_fma_f64 v[20:21], v[30:31], s[2:3], v[26:27]
	v_add_f64 v[8:9], v[44:45], v[8:9]
	v_add_f64 v[16:17], v[54:55], v[22:23]
	;; [unrolled: 1-line block ×3, first 2 shown]
	v_fma_f64 v[24:25], v[30:31], s[4:5], v[26:27]
	v_fma_f64 v[26:27], v[4:5], s[4:5], v[34:35]
	;; [unrolled: 1-line block ×11, first 2 shown]
	ds_write2_b64 v79, v[6:7], v[20:21] offset1:176
	ds_write2_b64 v67, v[24:25], v[8:9] offset0:32 offset1:208
	ds_write2_b64 v68, v[4:5], v[32:33] offset0:64 offset1:240
	ds_write2_b64 v66, v[16:17], v[36:37] offset0:32 offset1:208
	ds_write_b64 v58, v[2:3] offset:11264
	s_waitcnt lgkmcnt(0)
	s_barrier
	ds_read_b64 v[12:13], v79
	ds_read2_b64 v[0:3], v67 offset0:32 offset1:208
	ds_read2_b64 v[8:11], v69 offset0:32 offset1:208
	;; [unrolled: 1-line block ×3, first 2 shown]
	ds_read_b64 v[16:17], v81
	ds_read_b64 v[18:19], v79 offset:11264
	s_waitcnt lgkmcnt(0)
	s_barrier
	ds_write2_b64 v79, v[28:29], v[26:27] offset1:176
	ds_write2_b64 v67, v[30:31], v[38:39] offset0:32 offset1:208
	ds_write2_b64 v68, v[34:35], v[40:41] offset0:64 offset1:240
	;; [unrolled: 1-line block ×3, first 2 shown]
	ds_write_b64 v58, v[44:45] offset:11264
	s_waitcnt lgkmcnt(0)
	s_barrier
	s_and_saveexec_b64 s[0:1], vcc
	s_cbranch_execz .LBB0_45
; %bb.44:
	v_mov_b32_e32 v62, v59
	v_lshlrev_b64 v[20:21], 4, v[61:62]
	v_mov_b32_e32 v22, s9
	v_add_co_u32_e32 v20, vcc, s8, v20
	v_addc_co_u32_e32 v38, vcc, v22, v21, vcc
	v_add_co_u32_e32 v44, vcc, 0x20c0, v20
	v_addc_co_u32_e32 v45, vcc, 0, v38, vcc
	v_mov_b32_e32 v61, v59
	v_add_co_u32_e32 v46, vcc, 0x2000, v20
	v_lshlrev_b64 v[20:21], 4, v[60:61]
	s_movk_i32 s6, 0x20c0
	v_add_co_u32_e64 v30, s[0:1], s8, v20
	v_addc_co_u32_e64 v31, s[0:1], v22, v21, s[0:1]
	v_add_co_u32_e64 v36, s[0:1], s6, v30
	v_addc_co_u32_e64 v37, s[0:1], 0, v31, s[0:1]
	v_add_co_u32_e64 v28, s[0:1], s6, v14
	s_movk_i32 s7, 0x2000
	v_addc_co_u32_e64 v29, s[0:1], 0, v15, s[0:1]
	v_add_co_u32_e64 v14, s[0:1], s7, v14
	v_addc_co_u32_e64 v15, s[0:1], 0, v15, s[0:1]
	global_load_dwordx4 v[20:23], v[14:15], off offset:192
	global_load_dwordx4 v[24:27], v[28:29], off offset:16
	v_add_co_u32_e64 v14, s[0:1], s7, v30
	v_addc_co_u32_e64 v15, s[0:1], 0, v31, s[0:1]
	v_addc_co_u32_e32 v47, vcc, 0, v38, vcc
	global_load_dwordx4 v[28:31], v[14:15], off offset:192
	global_load_dwordx4 v[32:35], v[36:37], off offset:16
	s_nop 0
	global_load_dwordx4 v[36:39], v[46:47], off offset:192
	global_load_dwordx4 v[40:43], v[44:45], off offset:16
	v_add_u32_e32 v44, 0xa00, v79
	v_add_u32_e32 v52, 0x1400, v79
	;; [unrolled: 1-line block ×3, first 2 shown]
	ds_read_b64 v[14:15], v81
	ds_read_b64 v[58:59], v79 offset:11264
	ds_read_b64 v[60:61], v79
	ds_read2_b64 v[44:47], v44 offset0:32 offset1:208
	ds_read2_b64 v[48:51], v48 offset0:32 offset1:208
	;; [unrolled: 1-line block ×3, first 2 shown]
	v_mad_u64_u32 v[62:63], s[0:1], s12, v76, 0
	s_waitcnt vmcnt(5)
	v_mul_f64 v[64:65], v[2:3], v[22:23]
	s_waitcnt vmcnt(4)
	v_mul_f64 v[66:67], v[8:9], v[26:27]
	s_waitcnt lgkmcnt(2)
	v_mul_f64 v[22:23], v[46:47], v[22:23]
	s_waitcnt lgkmcnt(1)
	v_mul_f64 v[26:27], v[48:49], v[26:27]
	s_waitcnt vmcnt(3)
	v_mul_f64 v[68:69], v[4:5], v[30:31]
	s_waitcnt vmcnt(2)
	v_mul_f64 v[70:71], v[10:11], v[34:35]
	s_waitcnt lgkmcnt(0)
	v_mul_f64 v[30:31], v[52:53], v[30:31]
	v_mul_f64 v[34:35], v[50:51], v[34:35]
	s_waitcnt vmcnt(1)
	v_mul_f64 v[72:73], v[6:7], v[38:39]
	s_waitcnt vmcnt(0)
	v_mul_f64 v[74:75], v[18:19], v[42:43]
	v_mul_f64 v[38:39], v[54:55], v[38:39]
	;; [unrolled: 1-line block ×3, first 2 shown]
	v_fma_f64 v[46:47], v[46:47], v[20:21], -v[64:65]
	v_fma_f64 v[48:49], v[48:49], v[24:25], -v[66:67]
	v_fma_f64 v[2:3], v[2:3], v[20:21], v[22:23]
	v_fma_f64 v[64:65], v[8:9], v[24:25], v[26:27]
	v_fma_f64 v[8:9], v[52:53], v[28:29], -v[68:69]
	v_fma_f64 v[20:21], v[50:51], v[32:33], -v[70:71]
	v_fma_f64 v[4:5], v[4:5], v[28:29], v[30:31]
	v_fma_f64 v[10:11], v[10:11], v[32:33], v[34:35]
	v_fma_f64 v[22:23], v[54:55], v[36:37], -v[72:73]
	v_fma_f64 v[24:25], v[58:59], v[40:41], -v[74:75]
	v_fma_f64 v[6:7], v[6:7], v[36:37], v[38:39]
	v_fma_f64 v[18:19], v[18:19], v[40:41], v[42:43]
	v_add_f64 v[26:27], v[46:47], v[48:49]
	v_add_f64 v[28:29], v[2:3], -v[64:65]
	v_add_f64 v[30:31], v[2:3], v[64:65]
	v_add_f64 v[40:41], v[12:13], v[2:3]
	;; [unrolled: 1-line block ×4, first 2 shown]
	v_add_f64 v[42:43], v[8:9], -v[20:21]
	v_add_f64 v[8:9], v[4:5], v[10:11]
	v_add_f64 v[50:51], v[22:23], v[24:25]
	;; [unrolled: 1-line block ×3, first 2 shown]
	v_add_f64 v[58:59], v[22:23], -v[24:25]
	v_add_f64 v[22:23], v[6:7], v[18:19]
	v_add_f64 v[34:35], v[60:61], v[46:47]
	v_add_f64 v[38:39], v[46:47], -v[48:49]
	v_add_f64 v[46:47], v[16:17], v[4:5]
	v_add_f64 v[52:53], v[6:7], -v[18:19]
	v_add_f64 v[6:7], v[0:1], v[6:7]
	v_fma_f64 v[26:27], v[26:27], -0.5, v[60:61]
	v_fma_f64 v[60:61], v[30:31], -0.5, v[12:13]
	;; [unrolled: 1-line block ×4, first 2 shown]
	v_add_f64 v[32:33], v[4:5], -v[10:11]
	v_fma_f64 v[14:15], v[2:3], -0.5, v[14:15]
	v_add_f64 v[2:3], v[46:47], v[10:11]
	v_fma_f64 v[10:11], v[50:51], -0.5, v[44:45]
	v_add_f64 v[6:7], v[6:7], v[18:19]
	v_fma_f64 v[12:13], v[28:29], s[2:3], v[26:27]
	v_fma_f64 v[16:17], v[28:29], s[4:5], v[26:27]
	;; [unrolled: 1-line block ×6, first 2 shown]
	v_mov_b32_e32 v0, v63
	v_mad_u64_u32 v[0:1], s[0:1], s13, v76, v[0:1]
	v_add_f64 v[4:5], v[36:37], v[20:21]
	v_add_f64 v[8:9], v[54:55], v[24:25]
	v_fma_f64 v[20:21], v[32:33], s[2:3], v[14:15]
	v_fma_f64 v[24:25], v[32:33], s[4:5], v[14:15]
	;; [unrolled: 1-line block ×4, first 2 shown]
	v_add_f64 v[36:37], v[34:35], v[48:49]
	v_fma_f64 v[10:11], v[38:39], s[4:5], v[60:61]
	v_fma_f64 v[14:15], v[38:39], s[2:3], v[60:61]
	v_add_f64 v[34:35], v[40:41], v[64:65]
	v_mad_u64_u32 v[38:39], s[0:1], s12, v80, 0
	v_mov_b32_e32 v63, v0
	v_mov_b32_e32 v0, s15
	v_add_co_u32_e32 v42, vcc, s14, v56
	v_addc_co_u32_e32 v43, vcc, v0, v57, vcc
	v_lshlrev_b64 v[0:1], 4, v[62:63]
	v_mad_u64_u32 v[39:40], s[0:1], s13, v80, v[39:40]
	v_add_co_u32_e32 v0, vcc, v42, v0
	v_add_u32_e32 v44, 0x420, v76
	v_addc_co_u32_e32 v1, vcc, v43, v1, vcc
	v_mad_u64_u32 v[40:41], s[0:1], s12, v44, 0
	global_store_dwordx4 v[0:1], v[34:37], off
	v_lshlrev_b64 v[0:1], 4, v[38:39]
	v_mov_b32_e32 v34, v41
	v_add_co_u32_e32 v0, vcc, v42, v0
	v_addc_co_u32_e32 v1, vcc, v43, v1, vcc
	v_mad_u64_u32 v[34:35], s[0:1], s13, v44, v[34:35]
	global_store_dwordx4 v[0:1], v[14:17], off
	s_movk_i32 s2, 0x420
	v_add_u32_e32 v16, 0xb0, v76
	v_mad_u64_u32 v[14:15], s[0:1], s12, v16, 0
	v_mov_b32_e32 v41, v34
	v_lshlrev_b64 v[0:1], 4, v[40:41]
	v_mad_u64_u32 v[15:16], s[0:1], s13, v16, v[15:16]
	v_add_co_u32_e32 v0, vcc, v42, v0
	v_addc_co_u32_e32 v1, vcc, v43, v1, vcc
	v_mad_u64_u32 v[16:17], s[0:1], s12, v78, 0
	global_store_dwordx4 v[0:1], v[10:13], off
	v_lshlrev_b64 v[0:1], 4, v[14:15]
	v_mov_b32_e32 v10, v17
	v_add_co_u32_e32 v0, vcc, v42, v0
	v_addc_co_u32_e32 v1, vcc, v43, v1, vcc
	global_store_dwordx4 v[0:1], v[2:5], off
	v_mad_u64_u32 v[10:11], s[0:1], s13, v78, v[10:11]
	v_add_u32_e32 v4, 0x4d0, v76
	v_mad_u64_u32 v[2:3], s[0:1], s12, v4, 0
	s_mov_b32 s0, 0x3e0f83e1
	v_mul_hi_u32 v5, v77, s0
	v_mad_u64_u32 v[3:4], s[0:1], s13, v4, v[3:4]
	v_mov_b32_e32 v17, v10
	v_lshrrev_b32_e32 v4, 7, v5
	v_mad_u32_u24 v10, v4, s2, v77
	v_lshlrev_b64 v[0:1], 4, v[16:17]
	v_mad_u64_u32 v[4:5], s[0:1], s12, v10, 0
	v_add_co_u32_e32 v0, vcc, v42, v0
	v_addc_co_u32_e32 v1, vcc, v43, v1, vcc
	global_store_dwordx4 v[0:1], v[22:25], off
	v_lshlrev_b64 v[0:1], 4, v[2:3]
	v_mov_b32_e32 v2, v5
	v_mad_u64_u32 v[2:3], s[0:1], s13, v10, v[2:3]
	v_add_co_u32_e32 v0, vcc, v42, v0
	v_addc_co_u32_e32 v1, vcc, v43, v1, vcc
	v_mov_b32_e32 v5, v2
	global_store_dwordx4 v[0:1], v[18:21], off
	v_lshlrev_b64 v[0:1], 4, v[4:5]
	v_add_u32_e32 v4, 0x210, v10
	v_mad_u64_u32 v[2:3], s[0:1], s12, v4, 0
	v_add_u32_e32 v10, 0x420, v10
	v_add_co_u32_e32 v0, vcc, v42, v0
	v_mad_u64_u32 v[3:4], s[0:1], s13, v4, v[3:4]
	v_mad_u64_u32 v[4:5], s[0:1], s12, v10, 0
	v_addc_co_u32_e32 v1, vcc, v43, v1, vcc
	global_store_dwordx4 v[0:1], v[6:9], off
	v_lshlrev_b64 v[0:1], 4, v[2:3]
	v_mov_b32_e32 v2, v5
	v_mad_u64_u32 v[2:3], s[0:1], s13, v10, v[2:3]
	v_add_co_u32_e32 v0, vcc, v42, v0
	v_addc_co_u32_e32 v1, vcc, v43, v1, vcc
	v_mov_b32_e32 v5, v2
	global_store_dwordx4 v[0:1], v[30:33], off
	v_lshlrev_b64 v[0:1], 4, v[4:5]
	v_add_co_u32_e32 v0, vcc, v42, v0
	v_addc_co_u32_e32 v1, vcc, v43, v1, vcc
	global_store_dwordx4 v[0:1], v[26:29], off
.LBB0_45:
	s_endpgm
	.section	.rodata,"a",@progbits
	.p2align	6, 0x0
	.amdhsa_kernel fft_rtc_back_len1584_factors_4_2_2_11_3_3_wgs_176_tpt_176_halfLds_dp_ip_CI_sbrr_dirReg
		.amdhsa_group_segment_fixed_size 0
		.amdhsa_private_segment_fixed_size 0
		.amdhsa_kernarg_size 88
		.amdhsa_user_sgpr_count 6
		.amdhsa_user_sgpr_private_segment_buffer 1
		.amdhsa_user_sgpr_dispatch_ptr 0
		.amdhsa_user_sgpr_queue_ptr 0
		.amdhsa_user_sgpr_kernarg_segment_ptr 1
		.amdhsa_user_sgpr_dispatch_id 0
		.amdhsa_user_sgpr_flat_scratch_init 0
		.amdhsa_user_sgpr_private_segment_size 0
		.amdhsa_uses_dynamic_stack 0
		.amdhsa_system_sgpr_private_segment_wavefront_offset 0
		.amdhsa_system_sgpr_workgroup_id_x 1
		.amdhsa_system_sgpr_workgroup_id_y 0
		.amdhsa_system_sgpr_workgroup_id_z 0
		.amdhsa_system_sgpr_workgroup_info 0
		.amdhsa_system_vgpr_workitem_id 0
		.amdhsa_next_free_vgpr 118
		.amdhsa_next_free_sgpr 40
		.amdhsa_reserve_vcc 1
		.amdhsa_reserve_flat_scratch 0
		.amdhsa_float_round_mode_32 0
		.amdhsa_float_round_mode_16_64 0
		.amdhsa_float_denorm_mode_32 3
		.amdhsa_float_denorm_mode_16_64 3
		.amdhsa_dx10_clamp 1
		.amdhsa_ieee_mode 1
		.amdhsa_fp16_overflow 0
		.amdhsa_exception_fp_ieee_invalid_op 0
		.amdhsa_exception_fp_denorm_src 0
		.amdhsa_exception_fp_ieee_div_zero 0
		.amdhsa_exception_fp_ieee_overflow 0
		.amdhsa_exception_fp_ieee_underflow 0
		.amdhsa_exception_fp_ieee_inexact 0
		.amdhsa_exception_int_div_zero 0
	.end_amdhsa_kernel
	.text
.Lfunc_end0:
	.size	fft_rtc_back_len1584_factors_4_2_2_11_3_3_wgs_176_tpt_176_halfLds_dp_ip_CI_sbrr_dirReg, .Lfunc_end0-fft_rtc_back_len1584_factors_4_2_2_11_3_3_wgs_176_tpt_176_halfLds_dp_ip_CI_sbrr_dirReg
                                        ; -- End function
	.section	.AMDGPU.csdata,"",@progbits
; Kernel info:
; codeLenInByte = 9968
; NumSgprs: 44
; NumVgprs: 118
; ScratchSize: 0
; MemoryBound: 1
; FloatMode: 240
; IeeeMode: 1
; LDSByteSize: 0 bytes/workgroup (compile time only)
; SGPRBlocks: 5
; VGPRBlocks: 29
; NumSGPRsForWavesPerEU: 44
; NumVGPRsForWavesPerEU: 118
; Occupancy: 2
; WaveLimiterHint : 1
; COMPUTE_PGM_RSRC2:SCRATCH_EN: 0
; COMPUTE_PGM_RSRC2:USER_SGPR: 6
; COMPUTE_PGM_RSRC2:TRAP_HANDLER: 0
; COMPUTE_PGM_RSRC2:TGID_X_EN: 1
; COMPUTE_PGM_RSRC2:TGID_Y_EN: 0
; COMPUTE_PGM_RSRC2:TGID_Z_EN: 0
; COMPUTE_PGM_RSRC2:TIDIG_COMP_CNT: 0
	.type	__hip_cuid_c69ce87fe0d95d93,@object ; @__hip_cuid_c69ce87fe0d95d93
	.section	.bss,"aw",@nobits
	.globl	__hip_cuid_c69ce87fe0d95d93
__hip_cuid_c69ce87fe0d95d93:
	.byte	0                               ; 0x0
	.size	__hip_cuid_c69ce87fe0d95d93, 1

	.ident	"AMD clang version 19.0.0git (https://github.com/RadeonOpenCompute/llvm-project roc-6.4.0 25133 c7fe45cf4b819c5991fe208aaa96edf142730f1d)"
	.section	".note.GNU-stack","",@progbits
	.addrsig
	.addrsig_sym __hip_cuid_c69ce87fe0d95d93
	.amdgpu_metadata
---
amdhsa.kernels:
  - .args:
      - .actual_access:  read_only
        .address_space:  global
        .offset:         0
        .size:           8
        .value_kind:     global_buffer
      - .offset:         8
        .size:           8
        .value_kind:     by_value
      - .actual_access:  read_only
        .address_space:  global
        .offset:         16
        .size:           8
        .value_kind:     global_buffer
      - .actual_access:  read_only
        .address_space:  global
        .offset:         24
        .size:           8
        .value_kind:     global_buffer
      - .offset:         32
        .size:           8
        .value_kind:     by_value
      - .actual_access:  read_only
        .address_space:  global
        .offset:         40
        .size:           8
        .value_kind:     global_buffer
      - .actual_access:  read_only
        .address_space:  global
        .offset:         48
        .size:           8
        .value_kind:     global_buffer
      - .offset:         56
        .size:           4
        .value_kind:     by_value
      - .actual_access:  read_only
        .address_space:  global
        .offset:         64
        .size:           8
        .value_kind:     global_buffer
      - .actual_access:  read_only
        .address_space:  global
        .offset:         72
        .size:           8
        .value_kind:     global_buffer
      - .address_space:  global
        .offset:         80
        .size:           8
        .value_kind:     global_buffer
    .group_segment_fixed_size: 0
    .kernarg_segment_align: 8
    .kernarg_segment_size: 88
    .language:       OpenCL C
    .language_version:
      - 2
      - 0
    .max_flat_workgroup_size: 176
    .name:           fft_rtc_back_len1584_factors_4_2_2_11_3_3_wgs_176_tpt_176_halfLds_dp_ip_CI_sbrr_dirReg
    .private_segment_fixed_size: 0
    .sgpr_count:     44
    .sgpr_spill_count: 0
    .symbol:         fft_rtc_back_len1584_factors_4_2_2_11_3_3_wgs_176_tpt_176_halfLds_dp_ip_CI_sbrr_dirReg.kd
    .uniform_work_group_size: 1
    .uses_dynamic_stack: false
    .vgpr_count:     118
    .vgpr_spill_count: 0
    .wavefront_size: 64
amdhsa.target:   amdgcn-amd-amdhsa--gfx906
amdhsa.version:
  - 1
  - 2
...

	.end_amdgpu_metadata
